;; amdgpu-corpus repo=tuanlda78202/gpt-oss-amd kind=compiled arch=gfx1250 opt=O3
	.amdgcn_target "amdgcn-amd-amdhsa--gfx1250"
	.amdhsa_code_object_version 6
	.text
	.protected	_Z11topk_kernelPfS_Piiii ; -- Begin function _Z11topk_kernelPfS_Piiii
	.globl	_Z11topk_kernelPfS_Piiii
	.p2align	8
	.type	_Z11topk_kernelPfS_Piiii,@function
_Z11topk_kernelPfS_Piiii:               ; @_Z11topk_kernelPfS_Piiii
; %bb.0:
	s_load_b96 s[8:10], s[0:1], 0x18
	s_bfe_u32 s2, ttmp6, 0x4000c
	s_and_b32 s3, ttmp6, 15
	s_add_co_i32 s2, s2, 1
	s_getreg_b32 s4, hwreg(HW_REG_IB_STS2, 6, 4)
	s_mul_i32 s2, ttmp9, s2
	s_delay_alu instid0(SALU_CYCLE_1)
	s_add_co_i32 s3, s3, s2
	s_cmp_eq_u32 s4, 0
	s_cselect_b32 s11, ttmp9, s3
	s_wait_kmcnt 0x0
	s_cmp_ge_i32 s11, s8
	s_cbranch_scc1 .LBB0_19
; %bb.1:
	s_clause 0x1
	s_load_b128 s[4:7], s[0:1], 0x0
	s_load_b64 s[2:3], s[0:1], 0x10
	v_dual_mov_b32 v3, -1 :: v_dual_mov_b32 v2, 0xff7ff023
	s_wait_xcnt 0x0
	s_mov_b32 s0, exec_lo
	v_cmpx_gt_i32_e64 s9, v0
	s_cbranch_execz .LBB0_3
; %bb.2:
	s_mul_i32 s12, s9, s11
	v_mov_b32_e32 v3, v0
	s_ashr_i32 s13, s12, 31
	s_delay_alu instid0(SALU_CYCLE_1)
	s_lshl_b64 s[12:13], s[12:13], 2
	s_wait_kmcnt 0x0
	s_add_nc_u64 s[4:5], s[4:5], s[12:13]
	global_load_b32 v2, v0, s[4:5] scale_offset
.LBB0_3:
	s_wait_xcnt 0x0
	s_or_b32 exec_lo, exec_lo, s0
	v_lshlrev_b32_e32 v1, 2, v0
	s_mov_b32 s0, exec_lo
	s_wait_loadcnt 0x0
	ds_store_2addr_stride64_b32 v1, v2, v3 offset1:16
	s_wait_dscnt 0x0
	s_barrier_signal -1
	s_barrier_wait -1
	v_cmpx_eq_u32_e32 0, v0
	s_cbranch_execz .LBB0_17
; %bb.4:
	s_min_i32 s1, s10, s9
	s_delay_alu instid0(SALU_CYCLE_1)
	s_cmp_lt_i32 s1, 1
	s_cbranch_scc1 .LBB0_17
; %bb.5:
	s_wait_kmcnt 0x0
	s_add_co_i32 s4, s9, -2
	s_add_co_i32 s5, s9, 7
	s_mov_b32 s13, 0
	s_mov_b32 s8, 4
	s_branch .LBB0_7
.LBB0_6:                                ;   in Loop: Header=BB0_7 Depth=1
	s_add_co_i32 s8, s8, 4
	s_add_co_i32 s5, s5, 7
	s_cmp_lg_u32 s12, s1
	s_mov_b32 s13, s12
	s_cbranch_scc0 .LBB0_17
.LBB0_7:                                ; =>This Loop Header: Depth=1
                                        ;     Child Loop BB0_10 Depth 2
                                        ;     Child Loop BB0_14 Depth 2
	s_lshl_b32 s15, s13, 2
	s_add_co_i32 s12, s13, 1
	v_mov_b32_e32 v2, s15
	s_cmp_ge_i32 s12, s9
	s_mov_b32 s16, s13
	ds_load_b32 v2, v2
	s_wait_dscnt 0x0
	v_readfirstlane_b32 s14, v2
	s_cbranch_scc1 .LBB0_15
; %bb.8:                                ;   in Loop: Header=BB0_7 Depth=1
	s_not_b32 s16, s13
	s_mov_b32 s18, s12
	s_add_co_i32 s16, s9, s16
	s_delay_alu instid0(SALU_CYCLE_1)
	s_and_b32 s17, s16, 7
	s_mov_b32 s16, s13
	s_cmp_eq_u32 s17, 0
	s_mov_b32 s17, s14
	s_cbranch_scc1 .LBB0_12
; %bb.9:                                ;   in Loop: Header=BB0_7 Depth=1
	s_and_b32 s18, s5, 7
	s_mov_b32 s19, 0
	s_mov_b32 s20, s8
	;; [unrolled: 1-line block ×4, first 2 shown]
.LBB0_10:                               ;   Parent Loop BB0_7 Depth=1
                                        ; =>  This Inner Loop Header: Depth=2
	v_mov_b32_e32 v2, s20
	s_add_co_i32 s19, s19, 1
	s_delay_alu instid0(SALU_CYCLE_1)
	s_add_co_i32 s21, s13, s19
	ds_load_b32 v2, v2
	s_wait_dscnt 0x0
	v_readfirstlane_b32 s22, v2
	s_cmp_gt_f32 s22, s17
	s_cselect_b32 s16, s21, s16
	s_cselect_b32 s17, s22, s17
	s_add_co_i32 s20, s20, 4
	s_cmp_lg_u32 s18, s19
	s_cbranch_scc1 .LBB0_10
; %bb.11:                               ;   in Loop: Header=BB0_7 Depth=1
	s_add_co_i32 s18, s21, 1
.LBB0_12:                               ;   in Loop: Header=BB0_7 Depth=1
	s_sub_co_i32 s19, s4, s13
	s_delay_alu instid0(SALU_CYCLE_1)
	s_cmp_lt_u32 s19, 7
	s_cbranch_scc1 .LBB0_15
; %bb.13:                               ;   in Loop: Header=BB0_7 Depth=1
	s_lshl_b32 s19, s18, 2
.LBB0_14:                               ;   Parent Loop BB0_7 Depth=1
                                        ; =>  This Inner Loop Header: Depth=2
	s_delay_alu instid0(SALU_CYCLE_1)
	v_mov_b32_e32 v8, s19
	ds_load_2addr_b32 v[2:3], v8 offset1:1
	ds_load_2addr_b32 v[4:5], v8 offset0:2 offset1:3
	ds_load_2addr_b32 v[6:7], v8 offset0:4 offset1:5
	;; [unrolled: 1-line block ×3, first 2 shown]
	s_wait_dscnt 0x3
	v_readfirstlane_b32 s20, v2
	v_readfirstlane_b32 s21, v3
	s_wait_dscnt 0x2
	v_readfirstlane_b32 s22, v4
	v_readfirstlane_b32 s23, v5
	s_wait_dscnt 0x1
	v_readfirstlane_b32 s24, v6
	s_cmp_gt_f32 s20, s17
	v_readfirstlane_b32 s25, v7
	s_wait_dscnt 0x0
	v_readfirstlane_b32 s26, v8
	v_readfirstlane_b32 s27, v9
	s_cselect_b32 s17, s20, s17
	s_cselect_b32 s16, s18, s16
	s_add_co_i32 s20, s18, 1
	s_cmp_gt_f32 s21, s17
	s_cselect_b32 s17, s21, s17
	s_cselect_b32 s16, s20, s16
	s_add_co_i32 s20, s18, 2
	s_cmp_gt_f32 s22, s17
	;; [unrolled: 4-line block ×7, first 2 shown]
	s_cselect_b32 s16, s20, s16
	s_cselect_b32 s17, s27, s17
	s_add_co_i32 s18, s18, 8
	s_add_co_i32 s19, s19, 32
	s_cmp_eq_u32 s18, s9
	s_cbranch_scc0 .LBB0_14
.LBB0_15:                               ;   in Loop: Header=BB0_7 Depth=1
	s_cmp_lg_u32 s16, s13
	s_cbranch_scc0 .LBB0_6
; %bb.16:                               ;   in Loop: Header=BB0_7 Depth=1
	s_lshl_b32 s13, s16, 2
	s_delay_alu instid0(SALU_CYCLE_1)
	v_dual_mov_b32 v7, s14 :: v_dual_mov_b32 v4, s13
	v_mov_b32_e32 v5, s15
	ds_load_2addr_stride64_b32 v[2:3], v4 offset1:16
	ds_load_b32 v6, v5 offset:4096
	s_wait_dscnt 0x1
	ds_store_b32 v5, v2
	ds_store_b32 v5, v3 offset:4096
	s_wait_dscnt 0x2
	ds_store_2addr_stride64_b32 v4, v7, v6 offset1:16
	s_branch .LBB0_6
.LBB0_17:
	s_or_b32 exec_lo, exec_lo, s0
	s_wait_dscnt 0x0
	s_barrier_signal -1
	s_barrier_wait -1
	s_mov_b32 s0, exec_lo
	v_cmpx_gt_i32_e64 s10, v0
	s_cbranch_execz .LBB0_19
; %bb.18:
	v_or_b32_e32 v2, 0x1000, v1
	s_mul_i32 s0, s10, s11
	ds_load_b32 v1, v1
	ds_load_b32 v2, v2
	s_ashr_i32 s1, s0, 31
	s_delay_alu instid0(SALU_CYCLE_1)
	s_lshl_b64 s[0:1], s[0:1], 2
	s_wait_kmcnt 0x0
	s_add_nc_u64 s[4:5], s[6:7], s[0:1]
	s_add_nc_u64 s[0:1], s[2:3], s[0:1]
	s_wait_dscnt 0x1
	global_store_b32 v0, v1, s[4:5] scale_offset
	s_wait_dscnt 0x0
	global_store_b32 v0, v2, s[0:1] scale_offset
.LBB0_19:
	s_endpgm
	.section	.rodata,"a",@progbits
	.p2align	6, 0x0
	.amdhsa_kernel _Z11topk_kernelPfS_Piiii
		.amdhsa_group_segment_fixed_size 8192
		.amdhsa_private_segment_fixed_size 0
		.amdhsa_kernarg_size 36
		.amdhsa_user_sgpr_count 2
		.amdhsa_user_sgpr_dispatch_ptr 0
		.amdhsa_user_sgpr_queue_ptr 0
		.amdhsa_user_sgpr_kernarg_segment_ptr 1
		.amdhsa_user_sgpr_dispatch_id 0
		.amdhsa_user_sgpr_kernarg_preload_length 0
		.amdhsa_user_sgpr_kernarg_preload_offset 0
		.amdhsa_user_sgpr_private_segment_size 0
		.amdhsa_wavefront_size32 1
		.amdhsa_uses_dynamic_stack 0
		.amdhsa_enable_private_segment 0
		.amdhsa_system_sgpr_workgroup_id_x 1
		.amdhsa_system_sgpr_workgroup_id_y 0
		.amdhsa_system_sgpr_workgroup_id_z 0
		.amdhsa_system_sgpr_workgroup_info 0
		.amdhsa_system_vgpr_workitem_id 0
		.amdhsa_next_free_vgpr 10
		.amdhsa_next_free_sgpr 28
		.amdhsa_named_barrier_count 0
		.amdhsa_reserve_vcc 0
		.amdhsa_float_round_mode_32 0
		.amdhsa_float_round_mode_16_64 0
		.amdhsa_float_denorm_mode_32 3
		.amdhsa_float_denorm_mode_16_64 3
		.amdhsa_fp16_overflow 0
		.amdhsa_memory_ordered 1
		.amdhsa_forward_progress 1
		.amdhsa_inst_pref_size 7
		.amdhsa_round_robin_scheduling 0
		.amdhsa_exception_fp_ieee_invalid_op 0
		.amdhsa_exception_fp_denorm_src 0
		.amdhsa_exception_fp_ieee_div_zero 0
		.amdhsa_exception_fp_ieee_overflow 0
		.amdhsa_exception_fp_ieee_underflow 0
		.amdhsa_exception_fp_ieee_inexact 0
		.amdhsa_exception_int_div_zero 0
	.end_amdhsa_kernel
	.text
.Lfunc_end0:
	.size	_Z11topk_kernelPfS_Piiii, .Lfunc_end0-_Z11topk_kernelPfS_Piiii
                                        ; -- End function
	.set _Z11topk_kernelPfS_Piiii.num_vgpr, 10
	.set _Z11topk_kernelPfS_Piiii.num_agpr, 0
	.set _Z11topk_kernelPfS_Piiii.numbered_sgpr, 28
	.set _Z11topk_kernelPfS_Piiii.num_named_barrier, 0
	.set _Z11topk_kernelPfS_Piiii.private_seg_size, 0
	.set _Z11topk_kernelPfS_Piiii.uses_vcc, 0
	.set _Z11topk_kernelPfS_Piiii.uses_flat_scratch, 0
	.set _Z11topk_kernelPfS_Piiii.has_dyn_sized_stack, 0
	.set _Z11topk_kernelPfS_Piiii.has_recursion, 0
	.set _Z11topk_kernelPfS_Piiii.has_indirect_call, 0
	.section	.AMDGPU.csdata,"",@progbits
; Kernel info:
; codeLenInByte = 864
; TotalNumSgprs: 28
; NumVgprs: 10
; ScratchSize: 0
; MemoryBound: 0
; FloatMode: 240
; IeeeMode: 1
; LDSByteSize: 8192 bytes/workgroup (compile time only)
; SGPRBlocks: 0
; VGPRBlocks: 0
; NumSGPRsForWavesPerEU: 28
; NumVGPRsForWavesPerEU: 10
; NamedBarCnt: 0
; Occupancy: 16
; WaveLimiterHint : 0
; COMPUTE_PGM_RSRC2:SCRATCH_EN: 0
; COMPUTE_PGM_RSRC2:USER_SGPR: 2
; COMPUTE_PGM_RSRC2:TRAP_HANDLER: 0
; COMPUTE_PGM_RSRC2:TGID_X_EN: 1
; COMPUTE_PGM_RSRC2:TGID_Y_EN: 0
; COMPUTE_PGM_RSRC2:TGID_Z_EN: 0
; COMPUTE_PGM_RSRC2:TIDIG_COMP_CNT: 0
	.text
	.p2alignl 7, 3214868480
	.fill 96, 4, 3214868480
	.section	.AMDGPU.gpr_maximums,"",@progbits
	.set amdgpu.max_num_vgpr, 0
	.set amdgpu.max_num_agpr, 0
	.set amdgpu.max_num_sgpr, 0
	.text
	.type	__hip_cuid_b18b234dc8da52c7,@object ; @__hip_cuid_b18b234dc8da52c7
	.section	.bss,"aw",@nobits
	.globl	__hip_cuid_b18b234dc8da52c7
__hip_cuid_b18b234dc8da52c7:
	.byte	0                               ; 0x0
	.size	__hip_cuid_b18b234dc8da52c7, 1

	.ident	"AMD clang version 22.0.0git (https://github.com/RadeonOpenCompute/llvm-project roc-7.2.4 26084 f58b06dce1f9c15707c5f808fd002e18c2accf7e)"
	.section	".note.GNU-stack","",@progbits
	.addrsig
	.addrsig_sym __hip_cuid_b18b234dc8da52c7
	.amdgpu_metadata
---
amdhsa.kernels:
  - .args:
      - .address_space:  global
        .offset:         0
        .size:           8
        .value_kind:     global_buffer
      - .address_space:  global
        .offset:         8
        .size:           8
        .value_kind:     global_buffer
      - .address_space:  global
        .offset:         16
        .size:           8
        .value_kind:     global_buffer
      - .offset:         24
        .size:           4
        .value_kind:     by_value
      - .offset:         28
        .size:           4
        .value_kind:     by_value
      - .offset:         32
        .size:           4
        .value_kind:     by_value
    .group_segment_fixed_size: 8192
    .kernarg_segment_align: 8
    .kernarg_segment_size: 36
    .language:       OpenCL C
    .language_version:
      - 2
      - 0
    .max_flat_workgroup_size: 1024
    .name:           _Z11topk_kernelPfS_Piiii
    .private_segment_fixed_size: 0
    .sgpr_count:     28
    .sgpr_spill_count: 0
    .symbol:         _Z11topk_kernelPfS_Piiii.kd
    .uniform_work_group_size: 1
    .uses_dynamic_stack: false
    .vgpr_count:     10
    .vgpr_spill_count: 0
    .wavefront_size: 32
amdhsa.target:   amdgcn-amd-amdhsa--gfx1250
amdhsa.version:
  - 1
  - 2
...

	.end_amdgpu_metadata
